;; amdgpu-corpus repo=ROCm/rocFFT kind=compiled arch=gfx1201 opt=O3
	.text
	.amdgcn_target "amdgcn-amd-amdhsa--gfx1201"
	.amdhsa_code_object_version 6
	.protected	fft_rtc_back_len343_factors_7_7_7_wgs_245_tpt_49_sp_op_CI_CI_sbrc_z_xy_aligned ; -- Begin function fft_rtc_back_len343_factors_7_7_7_wgs_245_tpt_49_sp_op_CI_CI_sbrc_z_xy_aligned
	.globl	fft_rtc_back_len343_factors_7_7_7_wgs_245_tpt_49_sp_op_CI_CI_sbrc_z_xy_aligned
	.p2align	8
	.type	fft_rtc_back_len343_factors_7_7_7_wgs_245_tpt_49_sp_op_CI_CI_sbrc_z_xy_aligned,@function
fft_rtc_back_len343_factors_7_7_7_wgs_245_tpt_49_sp_op_CI_CI_sbrc_z_xy_aligned: ; @fft_rtc_back_len343_factors_7_7_7_wgs_245_tpt_49_sp_op_CI_CI_sbrc_z_xy_aligned
; %bb.0:
	s_load_b256 s[4:11], s[0:1], 0x0
	v_add_nc_u32_e32 v4, 0x2df, v0
	v_dual_mov_b32 v2, 0 :: v_dual_add_nc_u32 v1, 0xf5, v0
	v_add_nc_u32_e32 v3, 0x1ea, v0
	v_add_nc_u32_e32 v6, 0x4c9, v0
	s_delay_alu instid0(VALU_DEP_4)
	v_mul_u32_u24_e32 v10, 0x2fd, v4
	v_add_nc_u32_e32 v5, 0x3d4, v0
	v_mul_u32_u24_e32 v8, 0x17f, v1
	v_mul_u32_u24_e32 v9, 0x2fd, v3
	;; [unrolled: 1-line block ×3, first 2 shown]
	v_lshrrev_b32_e32 v21, 18, v10
	v_add_nc_u32_e32 v7, 0x5be, v0
	v_lshrrev_b32_e32 v8, 17, v8
	v_lshrrev_b32_e32 v14, 18, v9
	v_lshrrev_b32_e32 v23, 19, v12
	v_mul_u32_u24_e32 v11, 0x5f9, v5
	v_mul_u32_u24_e32 v13, 0x5f9, v7
	v_mul_lo_u16 v9, 0x157, v8
	v_mul_lo_u16 v12, 0x157, v21
	s_wait_kmcnt 0x0
	s_load_b128 s[16:19], s[8:9], 0x8
	s_clause 0x1
	s_load_b128 s[12:15], s[0:1], 0x58
	s_load_b64 s[20:21], s[0:1], 0x20
	v_mul_lo_u16 v15, 0x157, v23
	v_sub_nc_u16 v1, v1, v9
	v_lshrrev_b32_e32 v22, 19, v11
	v_lshrrev_b32_e32 v24, 19, v13
	v_mul_lo_u16 v11, 0x157, v14
	v_sub_nc_u16 v6, v6, v15
	v_and_b32_e32 v15, 0xffff, v1
	v_mul_lo_u16 v13, 0x157, v22
	v_mul_lo_u16 v16, 0x157, v24
	v_sub_nc_u16 v3, v3, v11
	v_sub_nc_u16 v4, v4, v12
	v_and_b32_e32 v27, 0xffff, v6
	v_sub_nc_u16 v5, v5, v13
	v_sub_nc_u16 v25, v7, v16
	v_and_b32_e32 v16, 0xffff, v3
	v_and_b32_e32 v17, 0xffff, v4
	s_mov_b32 s9, 0
	v_and_b32_e32 v26, 0xffff, v5
	s_wait_kmcnt 0x0
	s_add_co_i32 s0, s16, -1
	s_mov_b32 s17, s9
	s_mul_hi_u32 s0, s0, 0xcccccccd
	s_delay_alu instid0(SALU_CYCLE_1) | instskip(NEXT) | instid1(SALU_CYCLE_1)
	s_lshr_b32 s8, s0, 2
	s_add_co_i32 s19, s8, 1
	s_delay_alu instid0(SALU_CYCLE_1) | instskip(SKIP_3) | instid1(SALU_CYCLE_1)
	s_mul_i32 s18, s19, s18
	s_cvt_f32_u32 s22, s19
	s_cvt_f32_u32 s0, s18
	s_sub_co_i32 s23, 0, s18
	v_rcp_iflag_f32_e32 v1, s22
	s_delay_alu instid0(SALU_CYCLE_1) | instskip(SKIP_3) | instid1(TRANS32_DEP_1)
	v_rcp_iflag_f32_e32 v10, s0
	s_load_b128 s[0:3], s[10:11], 0x0
	s_wait_kmcnt 0x0
	s_load_b32 s3, s[10:11], 0x10
	v_readfirstlane_b32 s16, v10
	s_delay_alu instid0(VALU_DEP_1) | instskip(NEXT) | instid1(SALU_CYCLE_3)
	s_mul_f32 s16, s16, 0x4f7ffffe
	s_cvt_u32_f32 s16, s16
	v_mad_co_u64_u32 v[3:4], null, s0, v0, 0
	s_delay_alu instid0(SALU_CYCLE_2)
	s_mul_i32 s23, s23, s16
	v_mad_co_u64_u32 v[5:6], null, s0, v15, 0
	s_wait_alu 0xfffe
	s_mul_hi_u32 s22, s16, s23
	v_readfirstlane_b32 s23, v1
	s_wait_alu 0xfffe
	s_add_co_i32 s16, s16, s22
	v_mul_lo_u32 v1, s2, v8
	s_mul_hi_u32 s16, ttmp9, s16
	v_mad_co_u64_u32 v[7:8], null, s0, v16, 0
	s_mul_i32 s22, s16, s18
	s_add_co_i32 s24, s16, 1
	s_wait_alu 0xfffe
	s_sub_co_i32 s22, ttmp9, s22
	s_mul_f32 s23, s23, 0x4f7ffffe
	s_wait_alu 0xfffe
	s_sub_co_i32 s25, s22, s18
	s_cmp_ge_u32 s22, s18
	v_mad_co_u64_u32 v[9:10], null, s0, v17, 0
	s_cselect_b32 s16, s24, s16
	s_cselect_b32 s22, s25, s22
	s_add_co_i32 s24, s16, 1
	s_wait_alu 0xfffe
	s_cmp_ge_u32 s22, s18
	s_cvt_u32_f32 s22, s23
	s_cselect_b32 s16, s24, s16
	s_not_b32 s8, s8
	s_mul_i32 s18, s16, s18
	s_wait_alu 0xfffe
	s_mul_i32 s8, s8, s22
	s_sub_co_i32 s18, ttmp9, s18
	s_mul_hi_u32 s8, s22, s8
	v_lshlrev_b64_e32 v[11:12], 3, v[1:2]
	s_add_co_i32 s22, s22, s8
	v_mul_lo_u32 v1, s2, v14
	s_wait_alu 0xfffe
	s_mul_hi_u32 s8, s18, s22
	s_mul_hi_u32 s22, ttmp9, s22
	s_mul_i32 s23, s8, s19
	v_mad_co_u64_u32 v[13:14], null, s1, v0, v[4:5]
	s_wait_alu 0xfffe
	s_sub_co_i32 s18, s18, s23
	s_add_co_i32 s23, s8, 1
	s_sub_co_i32 s24, s18, s19
	s_cmp_ge_u32 s18, s19
	v_mad_co_u64_u32 v[14:15], null, s1, v15, v[6:7]
	s_wait_alu 0xfffe
	s_cselect_b32 s8, s23, s8
	s_cselect_b32 s18, s24, s18
	s_add_co_i32 s23, s8, 1
	s_cmp_ge_u32 s18, s19
	s_mul_i32 s18, s22, s19
	s_wait_alu 0xfffe
	s_cselect_b32 s22, s23, s8
	s_sub_co_i32 s8, ttmp9, s18
	v_mad_co_u64_u32 v[15:16], null, s1, v16, v[8:9]
	s_sub_co_i32 s18, s8, s19
	s_cmp_ge_u32 s8, s19
	v_mov_b32_e32 v4, v13
	s_cselect_b32 s8, s18, s8
	v_mov_b32_e32 v6, v14
	s_sub_co_i32 s18, s8, s19
	s_cmp_ge_u32 s8, s19
	s_wait_kmcnt 0x0
	s_wait_alu 0xfffe
	s_mul_i32 s3, s22, s3
	s_cselect_b32 s8, s18, s8
	s_lshl_b64 s[18:19], s[6:7], 3
	v_lshlrev_b64_e32 v[3:4], 3, v[3:4]
	s_add_nc_u64 s[6:7], s[10:11], s[18:19]
	v_mov_b32_e32 v8, v15
	s_load_b64 s[10:11], s[6:7], 0x0
	s_mul_i32 s6, s8, 5
	v_lshlrev_b64_e32 v[5:6], 3, v[5:6]
	s_mul_i32 s7, s6, s2
	v_lshlrev_b64_e32 v[7:8], 3, v[7:8]
	s_add_co_i32 s8, s7, s3
	v_mad_co_u64_u32 v[16:17], null, s1, v17, v[10:11]
	s_lshl_b64 s[24:25], s[8:9], 3
	v_mad_co_u64_u32 v[17:18], null, s0, v26, 0
	v_lshlrev_b64_e32 v[19:20], 3, v[1:2]
	v_mul_lo_u32 v1, s2, v21
	s_mov_b32 s7, s9
	s_delay_alu instid0(VALU_DEP_4) | instskip(NEXT) | instid1(VALU_DEP_1)
	v_mov_b32_e32 v10, v16
	v_lshlrev_b64_e32 v[9:10], 3, v[9:10]
	s_wait_kmcnt 0x0
	s_mul_u64 s[10:11], s[10:11], s[16:17]
	s_delay_alu instid0(SALU_CYCLE_1) | instskip(NEXT) | instid1(SALU_CYCLE_1)
	s_lshl_b64 s[10:11], s[10:11], 3
	s_add_nc_u64 s[10:11], s[12:13], s[10:11]
	s_delay_alu instid0(SALU_CYCLE_1) | instskip(NEXT) | instid1(SALU_CYCLE_1)
	s_add_nc_u64 s[10:11], s[10:11], s[24:25]
	v_add_co_u32 v3, vcc_lo, s10, v3
	v_add_co_ci_u32_e32 v4, vcc_lo, s11, v4, vcc_lo
	v_add_co_u32 v5, vcc_lo, s10, v5
	s_wait_alu 0xfffd
	v_add_co_ci_u32_e32 v6, vcc_lo, s11, v6, vcc_lo
	v_add_co_u32 v7, vcc_lo, s10, v7
	s_wait_alu 0xfffd
	v_add_co_ci_u32_e32 v8, vcc_lo, s11, v8, vcc_lo
	v_add_co_u32 v5, vcc_lo, v5, v11
	s_wait_alu 0xfffd
	v_add_co_ci_u32_e32 v6, vcc_lo, v6, v12, vcc_lo
	v_mad_co_u64_u32 v[12:13], null, s0, v27, 0
	v_add_co_u32 v7, vcc_lo, v7, v19
	v_mov_b32_e32 v11, v18
	s_wait_alu 0xfffd
	v_add_co_ci_u32_e32 v8, vcc_lo, v8, v20, vcc_lo
	v_and_b32_e32 v20, 0xffff, v25
	v_add_co_u32 v19, vcc_lo, s10, v9
	v_mad_co_u64_u32 v[14:15], null, s1, v26, v[11:12]
	s_delay_alu instid0(VALU_DEP_3) | instskip(SKIP_3) | instid1(VALU_DEP_4)
	v_mad_co_u64_u32 v[15:16], null, s0, v20, 0
	s_wait_alu 0xfffd
	v_add_co_ci_u32_e32 v21, vcc_lo, s11, v10, vcc_lo
	v_lshlrev_b64_e32 v[10:11], 3, v[1:2]
	v_dual_mov_b32 v9, v13 :: v_dual_mov_b32 v18, v14
	v_mul_lo_u32 v1, s2, v22
	s_delay_alu instid0(VALU_DEP_2)
	v_mad_co_u64_u32 v[13:14], null, s1, v27, v[9:10]
	v_mov_b32_e32 v9, v16
	v_add_co_u32 v10, vcc_lo, v19, v10
	v_lshlrev_b64_e32 v[16:17], 3, v[17:18]
	s_wait_alu 0xfffd
	v_add_co_ci_u32_e32 v11, vcc_lo, v21, v11, vcc_lo
	s_delay_alu instid0(VALU_DEP_3)
	v_mad_co_u64_u32 v[20:21], null, s1, v20, v[9:10]
	v_lshlrev_b64_e32 v[18:19], 3, v[1:2]
	v_mul_lo_u32 v1, s2, v23
	v_add_co_u32 v9, vcc_lo, s10, v16
	s_wait_alu 0xfffd
	v_add_co_ci_u32_e32 v14, vcc_lo, s11, v17, vcc_lo
	v_mov_b32_e32 v16, v20
	s_delay_alu instid0(VALU_DEP_3)
	v_add_co_u32 v17, vcc_lo, v9, v18
	v_lshlrev_b64_e32 v[12:13], 3, v[12:13]
	s_wait_alu 0xfffd
	v_add_co_ci_u32_e32 v18, vcc_lo, v14, v19, vcc_lo
	v_lshlrev_b64_e32 v[19:20], 3, v[1:2]
	v_mul_lo_u32 v1, s2, v24
	v_lshlrev_b64_e32 v[14:15], 3, v[15:16]
	v_add_co_u32 v9, vcc_lo, s10, v12
	s_wait_alu 0xfffd
	v_add_co_ci_u32_e32 v16, vcc_lo, s11, v13, vcc_lo
	s_delay_alu instid0(VALU_DEP_3)
	v_add_co_u32 v21, vcc_lo, s10, v14
	v_lshlrev_b64_e32 v[12:13], 3, v[1:2]
	s_wait_alu 0xfffd
	v_add_co_ci_u32_e32 v22, vcc_lo, s11, v15, vcc_lo
	v_add_co_u32 v14, vcc_lo, v9, v19
	s_wait_alu 0xfffd
	v_add_co_ci_u32_e32 v15, vcc_lo, v16, v20, vcc_lo
	v_add_co_u32 v12, vcc_lo, v21, v12
	s_wait_alu 0xfffd
	v_add_co_ci_u32_e32 v13, vcc_lo, v22, v13, vcc_lo
	s_clause 0x6
	global_load_b64 v[19:20], v[3:4], off
	global_load_b64 v[5:6], v[5:6], off
	global_load_b64 v[7:8], v[7:8], off
	global_load_b64 v[9:10], v[10:11], off
	global_load_b64 v[16:17], v[17:18], off
	global_load_b64 v[14:15], v[14:15], off
	global_load_b64 v[11:12], v[12:13], off
	v_mul_u32_u24_e32 v1, 0x53a, v0
	s_add_nc_u64 s[10:11], s[20:21], s[18:19]
	s_clause 0x1
	s_load_b128 s[0:3], s[20:21], 0x0
	s_load_b64 s[10:11], s[10:11], 0x0
	s_wait_kmcnt 0x0
	s_load_b32 s3, s[20:21], 0x10
	v_lshrrev_b32_e32 v1, 16, v1
	s_delay_alu instid0(VALU_DEP_1) | instskip(SKIP_1) | instid1(VALU_DEP_2)
	v_mul_lo_u16 v3, v1, 49
	v_add_nc_u32_e32 v1, s6, v1
	v_sub_nc_u16 v4, v0, v3
	s_delay_alu instid0(VALU_DEP_2) | instskip(NEXT) | instid1(VALU_DEP_2)
	v_mul_hi_u32 v13, 0xcccccccd, v1
	v_and_b32_e32 v3, 0xff, v4
	v_and_b32_e32 v26, 0xffff, v4
	s_mul_i32 s2, s22, s2
	s_delay_alu instid0(VALU_DEP_3) | instskip(NEXT) | instid1(VALU_DEP_3)
	v_lshrrev_b32_e32 v13, 2, v13
	v_mul_lo_u16 v3, v3, 37
	s_delay_alu instid0(VALU_DEP_2) | instskip(NEXT) | instid1(VALU_DEP_2)
	v_lshl_add_u32 v13, v13, 2, v13
	v_lshrrev_b16 v3, 8, v3
	s_delay_alu instid0(VALU_DEP_2) | instskip(NEXT) | instid1(VALU_DEP_2)
	v_sub_nc_u32_e32 v1, v1, v13
	v_sub_nc_u16 v18, v4, v3
	v_lshl_add_u32 v13, v0, 3, 0
	s_delay_alu instid0(VALU_DEP_3) | instskip(NEXT) | instid1(VALU_DEP_3)
	v_mul_u32_u24_e32 v1, 0x157, v1
	v_lshrrev_b16 v18, 1, v18
	s_delay_alu instid0(VALU_DEP_3)
	v_add_nc_u32_e32 v21, 0xf00, v13
	v_add_nc_u32_e32 v23, 0x1e80, v13
	s_wait_loadcnt 0x5
	ds_store_2addr_b64 v13, v[19:20], v[5:6] offset1:245
	s_wait_loadcnt 0x3
	ds_store_2addr_b64 v21, v[7:8], v[9:10] offset0:10 offset1:255
	s_wait_loadcnt 0x1
	ds_store_2addr_b64 v23, v[16:17], v[14:15] offset0:4 offset1:249
	s_wait_loadcnt 0x0
	ds_store_b64 v13, v[11:12] offset:11760
	v_and_b32_e32 v18, 0x7f, v18
	v_lshlrev_b32_e32 v1, 3, v1
	global_wb scope:SCOPE_SE
	s_wait_dscnt 0x0
	s_wait_kmcnt 0x0
	s_barrier_signal -1
	s_barrier_wait -1
	v_add_nc_u16 v3, v18, v3
	v_lshlrev_b32_e32 v18, 3, v26
	global_inv scope:SCOPE_SE
	v_lshrrev_b16 v22, 2, v3
	v_add3_u32 v3, 0, v18, v1
	s_delay_alu instid0(VALU_DEP_2) | instskip(NEXT) | instid1(VALU_DEP_1)
	v_mul_lo_u16 v24, v22, 7
	v_sub_nc_u16 v24, v4, v24
	s_delay_alu instid0(VALU_DEP_3)
	v_add_nc_u32_e32 v4, 0x400, v3
	ds_load_2addr_b64 v[6:9], v3 offset0:49 offset1:98
	ds_load_2addr_b64 v[10:13], v4 offset0:117 offset1:166
	;; [unrolled: 1-line block ×3, first 2 shown]
	v_and_b32_e32 v30, 0xff, v24
	s_wait_dscnt 0x1
	v_dual_add_f32 v23, v6, v12 :: v_dual_add_f32 v24, v7, v13
	v_dual_sub_f32 v6, v6, v12 :: v_dual_sub_f32 v7, v7, v13
	v_dual_add_f32 v12, v8, v10 :: v_dual_add_f32 v13, v9, v11
	v_sub_f32_e32 v9, v9, v11
	s_wait_dscnt 0x0
	v_add_f32_e32 v11, v15, v17
	v_sub_f32_e32 v15, v17, v15
	v_mul_u32_u24_e32 v19, 6, v30
	v_add3_u32 v5, 0, v1, v18
	v_sub_f32_e32 v8, v8, v10
	v_add_f32_e32 v10, v14, v16
	v_sub_f32_e32 v14, v16, v14
	v_dual_sub_f32 v27, v13, v24 :: v_dual_lshlrev_b32 v20, 3, v19
	ds_load_b64 v[18:19], v5
	v_dual_add_f32 v16, v12, v23 :: v_dual_add_f32 v17, v13, v24
	v_dual_sub_f32 v25, v12, v23 :: v_dual_sub_f32 v12, v10, v12
	v_dual_sub_f32 v23, v23, v10 :: v_dual_sub_f32 v24, v24, v11
	v_add_f32_e32 v29, v15, v9
	v_dual_sub_f32 v13, v11, v13 :: v_dual_add_f32 v28, v14, v8
	v_dual_sub_f32 v31, v14, v8 :: v_dual_sub_f32 v32, v15, v9
	v_dual_sub_f32 v8, v8, v6 :: v_dual_add_f32 v11, v11, v17
	s_delay_alu instid0(VALU_DEP_4)
	v_dual_add_f32 v10, v10, v16 :: v_dual_add_f32 v17, v29, v7
	v_dual_sub_f32 v14, v6, v14 :: v_dual_sub_f32 v9, v9, v7
	v_dual_sub_f32 v15, v7, v15 :: v_dual_add_f32 v16, v28, v6
	v_dual_mul_f32 v23, 0x3f4a47b2, v23 :: v_dual_mul_f32 v24, 0x3f4a47b2, v24
	s_wait_dscnt 0x0
	v_dual_add_f32 v7, v11, v19 :: v_dual_mul_f32 v28, 0x3d64c772, v12
	v_mul_f32_e32 v29, 0x3d64c772, v13
	v_dual_mul_f32 v31, 0x3f08b237, v31 :: v_dual_mul_f32 v32, 0x3f08b237, v32
	v_dual_add_f32 v6, v10, v18 :: v_dual_fmamk_f32 v13, v13, 0x3d64c772, v24
	v_dual_mul_f32 v33, 0xbf5ff5aa, v8 :: v_dual_mul_f32 v34, 0xbf5ff5aa, v9
	v_fma_f32 v18, 0x3f3bfb3b, v25, -v28
	v_fma_f32 v19, 0x3f3bfb3b, v27, -v29
	v_fma_f32 v24, 0xbf3bfb3b, v27, -v24
	v_fmamk_f32 v27, v15, 0xbeae86e6, v32
	v_fma_f32 v28, 0xbf5ff5aa, v8, -v31
	v_mov_b32_e32 v8, v6
	v_fmamk_f32 v12, v12, 0x3d64c772, v23
	v_fma_f32 v29, 0xbf5ff5aa, v9, -v32
	v_mov_b32_e32 v9, v7
	v_fma_f32 v23, 0xbf3bfb3b, v25, -v23
	v_fmac_f32_e32 v8, 0xbf955555, v10
	v_fma_f32 v32, 0x3eae86e6, v15, -v34
	v_dual_fmac_f32 v27, 0xbee1c552, v17 :: v_dual_fmac_f32 v28, 0xbee1c552, v16
	v_fmac_f32_e32 v9, 0xbf955555, v11
	v_fmamk_f32 v25, v14, 0xbeae86e6, v31
	v_fma_f32 v31, 0x3eae86e6, v14, -v33
	v_dual_fmac_f32 v29, 0xbee1c552, v17 :: v_dual_add_f32 v14, v18, v8
	v_dual_fmac_f32 v32, 0xbee1c552, v17 :: v_dual_add_f32 v33, v12, v8
	s_delay_alu instid0(VALU_DEP_4) | instskip(SKIP_1) | instid1(VALU_DEP_4)
	v_dual_add_f32 v34, v13, v9 :: v_dual_fmac_f32 v25, 0xbee1c552, v16
	v_add_f32_e32 v17, v24, v9
	v_dual_sub_f32 v12, v14, v29 :: v_dual_fmac_f32 v31, 0xbee1c552, v16
	v_add_f32_e32 v16, v23, v8
	v_add_f32_e32 v15, v19, v9
	v_mad_u32_u24 v21, v26, 48, v3
	v_add_f32_e32 v8, v33, v27
	s_delay_alu instid0(VALU_DEP_4)
	v_dual_sub_f32 v11, v17, v31 :: v_dual_add_f32 v10, v32, v16
	v_sub_f32_e32 v16, v16, v32
	v_mul_u32_u24_e32 v32, 6, v26
	v_dual_sub_f32 v9, v34, v25 :: v_dual_add_f32 v14, v29, v14
	v_dual_add_f32 v13, v28, v15 :: v_dual_lshlrev_b32 v30, 3, v30
	v_dual_sub_f32 v15, v15, v28 :: v_dual_sub_f32 v18, v33, v27
	s_delay_alu instid0(VALU_DEP_4)
	v_dual_add_f32 v17, v31, v17 :: v_dual_lshlrev_b32 v32, 3, v32
	v_add_f32_e32 v19, v25, v34
	global_wb scope:SCOPE_SE
	s_barrier_signal -1
	s_barrier_wait -1
	global_inv scope:SCOPE_SE
	ds_store_b64 v21, v[6:7]
	ds_store_2addr_b64 v21, v[8:9], v[10:11] offset0:1 offset1:2
	ds_store_2addr_b64 v21, v[12:13], v[14:15] offset0:3 offset1:4
	;; [unrolled: 1-line block ×3, first 2 shown]
	global_wb scope:SCOPE_SE
	s_wait_dscnt 0x0
	s_barrier_signal -1
	s_barrier_wait -1
	global_inv scope:SCOPE_SE
	s_clause 0x2
	global_load_b128 v[6:9], v20, s[4:5]
	global_load_b128 v[10:13], v20, s[4:5] offset:16
	global_load_b128 v[14:17], v20, s[4:5] offset:32
	ds_load_2addr_b64 v[18:21], v3 offset0:49 offset1:98
	ds_load_2addr_b64 v[26:29], v4 offset0:117 offset1:166
	v_and_b32_e32 v31, 0xffff, v22
	ds_load_2addr_b64 v[22:25], v3 offset0:147 offset1:196
	s_wait_loadcnt_dscnt 0x202
	v_dual_mul_f32 v34, v9, v21 :: v_dual_mul_f32 v33, v7, v19
	s_wait_loadcnt_dscnt 0x100
	v_dual_mul_f32 v36, v13, v25 :: v_dual_mul_f32 v7, v7, v18
	s_wait_loadcnt 0x0
	v_dual_mul_f32 v38, v17, v29 :: v_dual_mul_f32 v35, v11, v23
	v_mul_f32_e32 v11, v11, v22
	v_dual_fmac_f32 v33, v6, v18 :: v_dual_fmac_f32 v34, v8, v20
	s_delay_alu instid0(VALU_DEP_3) | instskip(NEXT) | instid1(VALU_DEP_4)
	v_dual_fmac_f32 v38, v16, v28 :: v_dual_mul_f32 v37, v15, v27
	v_dual_fmac_f32 v36, v12, v24 :: v_dual_fmac_f32 v35, v10, v22
	v_mul_f32_e32 v15, v15, v26
	v_fma_f32 v6, v6, v19, -v7
	s_delay_alu instid0(VALU_DEP_4) | instskip(NEXT) | instid1(VALU_DEP_4)
	v_fmac_f32_e32 v37, v14, v26
	v_dual_mul_f32 v9, v9, v20 :: v_dual_sub_f32 v18, v36, v35
	v_mad_u32_u24 v31, 0x188, v31, 0
	s_delay_alu instid0(VALU_DEP_2) | instskip(SKIP_2) | instid1(VALU_DEP_4)
	v_fma_f32 v7, v8, v21, -v9
	v_fma_f32 v8, v10, v23, -v11
	;; [unrolled: 1-line block ×3, first 2 shown]
	v_add3_u32 v1, v31, v30, v1
	ds_load_b64 v[30:31], v5
	global_wb scope:SCOPE_SE
	s_wait_dscnt 0x0
	s_barrier_signal -1
	v_add_f32_e32 v15, v7, v11
	v_sub_f32_e32 v7, v7, v11
	v_add_f32_e32 v11, v35, v36
	v_mul_f32_e32 v17, v17, v28
	s_barrier_wait -1
	global_inv scope:SCOPE_SE
	v_fma_f32 v9, v16, v29, -v17
	v_mul_f32_e32 v13, v13, v24
	s_delay_alu instid0(VALU_DEP_1) | instskip(NEXT) | instid1(VALU_DEP_3)
	v_fma_f32 v10, v12, v25, -v13
	v_dual_add_f32 v12, v33, v38 :: v_dual_add_f32 v13, v6, v9
	v_sub_f32_e32 v6, v6, v9
	v_add_f32_e32 v9, v34, v37
	s_delay_alu instid0(VALU_DEP_4) | instskip(NEXT) | instid1(VALU_DEP_2)
	v_dual_add_f32 v17, v8, v10 :: v_dual_sub_f32 v8, v10, v8
	v_add_f32_e32 v10, v9, v12
	v_sub_f32_e32 v20, v9, v12
	v_sub_f32_e32 v12, v12, v11
	v_dual_sub_f32 v14, v33, v38 :: v_dual_add_f32 v19, v15, v13
	s_delay_alu instid0(VALU_DEP_2) | instskip(SKIP_1) | instid1(VALU_DEP_1)
	v_mul_f32_e32 v12, 0x3f4a47b2, v12
	v_sub_f32_e32 v16, v34, v37
	v_dual_add_f32 v22, v18, v16 :: v_dual_sub_f32 v21, v15, v13
	v_sub_f32_e32 v24, v18, v16
	v_dual_sub_f32 v18, v14, v18 :: v_dual_sub_f32 v15, v17, v15
	v_add_f32_e32 v10, v11, v10
	v_dual_sub_f32 v16, v16, v14 :: v_dual_sub_f32 v9, v11, v9
	v_dual_sub_f32 v13, v13, v17 :: v_dual_sub_f32 v26, v7, v6
	v_sub_f32_e32 v25, v8, v7
	v_dual_add_f32 v23, v8, v7 :: v_dual_sub_f32 v8, v6, v8
	v_dual_add_f32 v11, v17, v19 :: v_dual_add_f32 v14, v22, v14
	v_dual_mul_f32 v22, 0x3d64c772, v15 :: v_dual_mul_f32 v19, 0x3d64c772, v9
	s_delay_alu instid0(VALU_DEP_3)
	v_add_f32_e32 v17, v23, v6
	v_dual_mul_f32 v23, 0x3f08b237, v24 :: v_dual_add_f32 v6, v10, v30
	v_mul_f32_e32 v24, 0x3f08b237, v25
	v_fmamk_f32 v9, v9, 0x3d64c772, v12
	v_mul_f32_e32 v13, 0x3f4a47b2, v13
	v_fma_f32 v19, 0x3f3bfb3b, v20, -v19
	v_mul_f32_e32 v27, 0xbf5ff5aa, v26
	v_mul_f32_e32 v25, 0xbf5ff5aa, v16
	v_fma_f32 v22, 0x3f3bfb3b, v21, -v22
	v_fmamk_f32 v15, v15, 0x3d64c772, v13
	v_fma_f32 v12, 0xbf3bfb3b, v20, -v12
	v_fma_f32 v13, 0xbf3bfb3b, v21, -v13
	v_dual_fmamk_f32 v20, v18, 0xbeae86e6, v23 :: v_dual_add_f32 v7, v11, v31
	v_fmamk_f32 v21, v8, 0xbeae86e6, v24
	v_fma_f32 v16, 0xbf5ff5aa, v16, -v23
	v_fma_f32 v23, 0xbf5ff5aa, v26, -v24
	;; [unrolled: 1-line block ×3, first 2 shown]
	v_mov_b32_e32 v8, v6
	v_fma_f32 v18, 0x3eae86e6, v18, -v25
	v_dual_fmac_f32 v20, 0xbee1c552, v14 :: v_dual_mov_b32 v25, v7
	v_fmac_f32_e32 v16, 0xbee1c552, v14
	s_delay_alu instid0(VALU_DEP_4) | instskip(NEXT) | instid1(VALU_DEP_4)
	v_fmac_f32_e32 v8, 0xbf955555, v10
	v_dual_fmac_f32 v21, 0xbee1c552, v17 :: v_dual_fmac_f32 v18, 0xbee1c552, v14
	s_delay_alu instid0(VALU_DEP_4) | instskip(NEXT) | instid1(VALU_DEP_3)
	v_fmac_f32_e32 v25, 0xbf955555, v11
	v_dual_fmac_f32 v23, 0xbee1c552, v17 :: v_dual_add_f32 v14, v19, v8
	v_dual_fmac_f32 v24, 0xbee1c552, v17 :: v_dual_add_f32 v17, v12, v8
	s_delay_alu instid0(VALU_DEP_3) | instskip(NEXT) | instid1(VALU_DEP_3)
	v_add_f32_e32 v27, v15, v25
	v_dual_add_f32 v19, v13, v25 :: v_dual_sub_f32 v12, v14, v23
	v_add_f32_e32 v14, v23, v14
	v_dual_add_f32 v26, v9, v8 :: v_dual_add_f32 v15, v22, v25
	s_delay_alu instid0(VALU_DEP_4) | instskip(NEXT) | instid1(VALU_DEP_4)
	v_dual_sub_f32 v9, v27, v20 :: v_dual_add_f32 v10, v24, v17
	v_sub_f32_e32 v11, v19, v18
	s_delay_alu instid0(VALU_DEP_3)
	v_dual_add_f32 v8, v21, v26 :: v_dual_add_f32 v13, v16, v15
	v_sub_f32_e32 v15, v15, v16
	v_dual_sub_f32 v16, v17, v24 :: v_dual_add_f32 v17, v18, v19
	v_dual_sub_f32 v18, v26, v21 :: v_dual_add_f32 v19, v20, v27
	ds_store_2addr_b64 v1, v[6:7], v[8:9] offset1:7
	ds_store_2addr_b64 v1, v[10:11], v[12:13] offset0:14 offset1:21
	ds_store_2addr_b64 v1, v[14:15], v[16:17] offset0:28 offset1:35
	ds_store_b64 v1, v[18:19] offset:336
	global_wb scope:SCOPE_SE
	s_wait_dscnt 0x0
	s_barrier_signal -1
	s_barrier_wait -1
	global_inv scope:SCOPE_SE
	s_clause 0x2
	global_load_b128 v[6:9], v32, s[4:5] offset:336
	global_load_b128 v[10:13], v32, s[4:5] offset:352
	;; [unrolled: 1-line block ×3, first 2 shown]
	v_mul_u32_u24_e32 v1, 0x3334, v0
	s_mul_i32 s4, s3, 49
	s_delay_alu instid0(VALU_DEP_1) | instskip(NEXT) | instid1(VALU_DEP_1)
	v_lshrrev_b32_e32 v21, 16, v1
	v_mul_lo_u16 v18, v21, 5
	v_mul_lo_u32 v1, s3, v21
	s_mov_b32 s3, s9
	s_wait_alu 0xfffe
	s_lshl_b64 s[2:3], s[2:3], 3
	v_sub_nc_u16 v0, v0, v18
	s_delay_alu instid0(VALU_DEP_2) | instskip(NEXT) | instid1(VALU_DEP_2)
	v_lshlrev_b64_e32 v[26:27], 3, v[1:2]
	v_and_b32_e32 v20, 0xffff, v0
	v_add_nc_u32_e32 v1, s4, v1
	v_mul_lo_u16 v22, 0x157, v0
	s_delay_alu instid0(VALU_DEP_3) | instskip(NEXT) | instid1(VALU_DEP_3)
	v_mad_co_u64_u32 v[18:19], null, s0, v20, 0
	v_lshlrev_b64_e32 v[30:31], 3, v[1:2]
	v_add_nc_u32_e32 v1, s4, v1
	s_delay_alu instid0(VALU_DEP_4) | instskip(NEXT) | instid1(VALU_DEP_4)
	v_and_b32_e32 v22, 0xffff, v22
	v_mov_b32_e32 v0, v19
	s_delay_alu instid0(VALU_DEP_3) | instskip(SKIP_1) | instid1(VALU_DEP_1)
	v_lshlrev_b64_e32 v[32:33], 3, v[1:2]
	v_add_nc_u32_e32 v1, s4, v1
	v_mad_co_u64_u32 v[19:20], null, s1, v20, v[0:1]
	v_lshlrev_b64_e32 v[34:35], 3, v[1:2]
	v_add_nc_u32_e32 v1, s4, v1
	s_mul_u64 s[0:1], s[0:1], s[6:7]
	v_lshlrev_b32_e32 v20, 3, v22
	s_wait_alu 0xfffe
	s_lshl_b64 s[0:1], s[0:1], 3
	v_lshlrev_b32_e32 v0, 3, v21
	v_lshlrev_b64_e32 v[36:37], 3, v[1:2]
	v_add_nc_u32_e32 v1, s4, v1
	v_lshlrev_b64_e32 v[22:23], 3, v[18:19]
	s_wait_alu 0xfffe
	s_add_nc_u64 s[0:1], s[14:15], s[0:1]
	v_add3_u32 v44, 0, v0, v20
	s_wait_alu 0xfffe
	s_add_nc_u64 s[0:1], s[0:1], s[2:3]
	v_lshlrev_b64_e32 v[38:39], 3, v[1:2]
	v_add_nc_u32_e32 v1, s4, v1
	s_mul_u64 s[4:5], s[10:11], s[16:17]
	v_add3_u32 v45, 0, v20, v0
	s_wait_alu 0xfffe
	s_lshl_b64 s[2:3], s[4:5], 3
	ds_load_2addr_b64 v[18:21], v3 offset0:49 offset1:98
	s_wait_alu 0xfffe
	s_add_nc_u64 s[0:1], s[0:1], s[2:3]
	v_lshlrev_b64_e32 v[40:41], 3, v[1:2]
	s_wait_alu 0xfffe
	v_add_co_u32 v47, vcc_lo, s0, v22
	s_wait_alu 0xfffd
	v_add_co_ci_u32_e32 v48, vcc_lo, s1, v23, vcc_lo
	ds_load_2addr_b64 v[22:25], v3 offset0:147 offset1:196
	v_add_co_u32 v42, vcc_lo, v47, v26
	s_wait_alu 0xfffd
	v_add_co_ci_u32_e32 v43, vcc_lo, v48, v27, vcc_lo
	ds_load_2addr_b64 v[26:29], v4 offset0:117 offset1:166
	ds_load_b64 v[0:1], v5
	v_add_nc_u32_e32 v46, 0x400, v44
	global_wb scope:SCOPE_SE
	s_wait_loadcnt_dscnt 0x0
	s_barrier_signal -1
	s_barrier_wait -1
	global_inv scope:SCOPE_SE
	v_add_co_u32 v30, vcc_lo, v47, v30
	s_wait_alu 0xfffd
	v_add_co_ci_u32_e32 v31, vcc_lo, v48, v31, vcc_lo
	v_add_co_u32 v32, vcc_lo, v47, v32
	s_wait_alu 0xfffd
	v_add_co_ci_u32_e32 v33, vcc_lo, v48, v33, vcc_lo
	v_mul_f32_e32 v2, v7, v19
	v_dual_mul_f32 v4, v7, v18 :: v_dual_mul_f32 v7, v9, v20
	v_mul_f32_e32 v50, v15, v27
	v_mul_f32_e32 v15, v15, v26
	s_delay_alu instid0(VALU_DEP_4) | instskip(NEXT) | instid1(VALU_DEP_4)
	v_fmac_f32_e32 v2, v6, v18
	v_fma_f32 v4, v6, v19, -v4
	v_fma_f32 v6, v8, v21, -v7
	v_mul_f32_e32 v5, v9, v21
	v_mul_f32_e32 v9, v11, v23
	;; [unrolled: 1-line block ×3, first 2 shown]
	v_dual_mul_f32 v49, v13, v25 :: v_dual_fmac_f32 v50, v14, v26
	s_delay_alu instid0(VALU_DEP_3) | instskip(NEXT) | instid1(VALU_DEP_3)
	v_fmac_f32_e32 v9, v10, v22
	v_fma_f32 v7, v10, v23, -v11
	v_fma_f32 v11, v14, v27, -v15
	s_delay_alu instid0(VALU_DEP_1) | instskip(SKIP_1) | instid1(VALU_DEP_1)
	v_dual_fmac_f32 v49, v12, v24 :: v_dual_add_f32 v14, v6, v11
	v_dual_mul_f32 v13, v13, v24 :: v_dual_sub_f32 v6, v6, v11
	v_fma_f32 v10, v12, v25, -v13
	s_delay_alu instid0(VALU_DEP_1) | instskip(SKIP_1) | instid1(VALU_DEP_1)
	v_add_f32_e32 v15, v7, v10
	v_sub_f32_e32 v7, v10, v7
	v_dual_fmac_f32 v5, v8, v20 :: v_dual_sub_f32 v22, v7, v6
	v_add_f32_e32 v11, v9, v49
	v_mul_f32_e32 v51, v17, v29
	v_dual_mul_f32 v17, v17, v28 :: v_dual_add_f32 v20, v7, v6
	s_delay_alu instid0(VALU_DEP_2) | instskip(NEXT) | instid1(VALU_DEP_2)
	v_fmac_f32_e32 v51, v16, v28
	v_fma_f32 v8, v16, v29, -v17
	s_delay_alu instid0(VALU_DEP_1) | instskip(SKIP_3) | instid1(VALU_DEP_3)
	v_dual_add_f32 v12, v2, v51 :: v_dual_add_f32 v13, v4, v8
	v_sub_f32_e32 v4, v4, v8
	v_add_f32_e32 v8, v5, v50
	v_sub_f32_e32 v2, v2, v51
	v_dual_add_f32 v16, v14, v13 :: v_dual_sub_f32 v7, v4, v7
	s_delay_alu instid0(VALU_DEP_3)
	v_add_f32_e32 v10, v8, v12
	v_sub_f32_e32 v6, v6, v4
	v_add_f32_e32 v4, v20, v4
	v_mul_f32_e32 v20, 0x3f08b237, v22
	v_sub_f32_e32 v18, v14, v13
	v_dual_add_f32 v10, v11, v10 :: v_dual_sub_f32 v9, v49, v9
	v_mul_f32_e32 v22, 0xbf5ff5aa, v6
	s_delay_alu instid0(VALU_DEP_2) | instskip(SKIP_3) | instid1(VALU_DEP_3)
	v_add_f32_e32 v0, v10, v0
	v_dual_sub_f32 v14, v15, v14 :: v_dual_sub_f32 v17, v8, v12
	v_sub_f32_e32 v12, v12, v11
	v_sub_f32_e32 v8, v11, v8
	v_dual_add_f32 v11, v15, v16 :: v_dual_mul_f32 v16, 0x3d64c772, v14
	v_sub_f32_e32 v13, v13, v15
	s_delay_alu instid0(VALU_DEP_4) | instskip(NEXT) | instid1(VALU_DEP_3)
	v_dual_sub_f32 v5, v5, v50 :: v_dual_mul_f32 v12, 0x3f4a47b2, v12
	v_add_f32_e32 v1, v11, v1
	s_delay_alu instid0(VALU_DEP_4) | instskip(NEXT) | instid1(VALU_DEP_4)
	v_fma_f32 v16, 0x3f3bfb3b, v18, -v16
	v_mul_f32_e32 v13, 0x3f4a47b2, v13
	s_delay_alu instid0(VALU_DEP_4) | instskip(NEXT) | instid1(VALU_DEP_2)
	v_dual_mul_f32 v15, 0x3d64c772, v8 :: v_dual_fmamk_f32 v8, v8, 0x3d64c772, v12
	v_fmamk_f32 v14, v14, 0x3d64c772, v13
	v_fma_f32 v13, 0xbf3bfb3b, v18, -v13
	v_dual_fmamk_f32 v18, v7, 0xbeae86e6, v20 :: v_dual_add_f32 v19, v9, v5
	v_fma_f32 v20, 0xbf5ff5aa, v6, -v20
	v_mov_b32_e32 v6, v1
	v_sub_f32_e32 v21, v9, v5
	v_fma_f32 v22, 0x3eae86e6, v7, -v22
	s_delay_alu instid0(VALU_DEP_4) | instskip(SKIP_1) | instid1(VALU_DEP_3)
	v_dual_sub_f32 v9, v2, v9 :: v_dual_fmac_f32 v20, 0xbee1c552, v4
	v_dual_sub_f32 v5, v5, v2 :: v_dual_fmac_f32 v18, 0xbee1c552, v4
	v_fmac_f32_e32 v22, 0xbee1c552, v4
	v_add_f32_e32 v2, v19, v2
	v_fmac_f32_e32 v6, 0xbf955555, v11
	v_mul_f32_e32 v19, 0x3f08b237, v21
	v_mul_f32_e32 v21, 0xbf5ff5aa, v5
	v_fma_f32 v15, 0x3f3bfb3b, v17, -v15
	v_fma_f32 v12, 0xbf3bfb3b, v17, -v12
	v_add_f32_e32 v23, v14, v6
	v_fmamk_f32 v17, v9, 0xbeae86e6, v19
	v_fma_f32 v19, 0xbf5ff5aa, v5, -v19
	v_mov_b32_e32 v5, v0
	v_fma_f32 v21, 0x3eae86e6, v9, -v21
	v_add_f32_e32 v13, v13, v6
	v_add_f32_e32 v11, v16, v6
	v_fmac_f32_e32 v19, 0xbee1c552, v2
	v_fmac_f32_e32 v5, 0xbf955555, v10
	v_fmac_f32_e32 v21, 0xbee1c552, v2
	s_delay_alu instid0(VALU_DEP_3) | instskip(NEXT) | instid1(VALU_DEP_3)
	v_add_f32_e32 v9, v19, v11
	v_dual_add_f32 v10, v15, v5 :: v_dual_fmac_f32 v17, 0xbee1c552, v2
	v_add_f32_e32 v2, v8, v5
	v_add_f32_e32 v12, v12, v5
	s_delay_alu instid0(VALU_DEP_3) | instskip(NEXT) | instid1(VALU_DEP_3)
	v_dual_sub_f32 v7, v13, v21 :: v_dual_sub_f32 v8, v10, v20
	v_dual_sub_f32 v5, v23, v17 :: v_dual_add_f32 v4, v18, v2
	s_delay_alu instid0(VALU_DEP_3)
	v_add_f32_e32 v6, v22, v12
	v_sub_f32_e32 v12, v12, v22
	v_dual_add_f32 v10, v20, v10 :: v_dual_sub_f32 v11, v11, v19
	v_dual_add_f32 v13, v21, v13 :: v_dual_sub_f32 v14, v2, v18
	v_add_f32_e32 v15, v17, v23
	ds_store_2addr_b64 v3, v[0:1], v[4:5] offset1:49
	ds_store_2addr_b64 v3, v[6:7], v[8:9] offset0:98 offset1:147
	ds_store_2addr_b64 v3, v[10:11], v[12:13] offset0:196 offset1:245
	ds_store_b64 v3, v[14:15] offset:2352
	global_wb scope:SCOPE_SE
	s_wait_dscnt 0x0
	s_barrier_signal -1
	s_barrier_wait -1
	global_inv scope:SCOPE_SE
	ds_load_b64 v[12:13], v45
	ds_load_2addr_b64 v[0:3], v44 offset0:49 offset1:98
	ds_load_2addr_b64 v[4:7], v44 offset0:147 offset1:196
	;; [unrolled: 1-line block ×3, first 2 shown]
	v_add_co_u32 v14, vcc_lo, v47, v34
	s_wait_alu 0xfffd
	v_add_co_ci_u32_e32 v15, vcc_lo, v48, v35, vcc_lo
	v_add_co_u32 v16, vcc_lo, v47, v36
	s_wait_alu 0xfffd
	v_add_co_ci_u32_e32 v17, vcc_lo, v48, v37, vcc_lo
	v_add_co_u32 v18, vcc_lo, v47, v38
	s_wait_alu 0xfffd
	v_add_co_ci_u32_e32 v19, vcc_lo, v48, v39, vcc_lo
	v_add_co_u32 v20, vcc_lo, v47, v40
	s_wait_alu 0xfffd
	v_add_co_ci_u32_e32 v21, vcc_lo, v48, v41, vcc_lo
	s_wait_dscnt 0x3
	global_store_b64 v[42:43], v[12:13], off
	s_wait_dscnt 0x2
	s_clause 0x1
	global_store_b64 v[30:31], v[0:1], off
	global_store_b64 v[32:33], v[2:3], off
	s_wait_dscnt 0x1
	s_clause 0x1
	global_store_b64 v[14:15], v[4:5], off
	;; [unrolled: 4-line block ×3, first 2 shown]
	global_store_b64 v[20:21], v[10:11], off
	s_nop 0
	s_sendmsg sendmsg(MSG_DEALLOC_VGPRS)
	s_endpgm
	.section	.rodata,"a",@progbits
	.p2align	6, 0x0
	.amdhsa_kernel fft_rtc_back_len343_factors_7_7_7_wgs_245_tpt_49_sp_op_CI_CI_sbrc_z_xy_aligned
		.amdhsa_group_segment_fixed_size 0
		.amdhsa_private_segment_fixed_size 0
		.amdhsa_kernarg_size 104
		.amdhsa_user_sgpr_count 2
		.amdhsa_user_sgpr_dispatch_ptr 0
		.amdhsa_user_sgpr_queue_ptr 0
		.amdhsa_user_sgpr_kernarg_segment_ptr 1
		.amdhsa_user_sgpr_dispatch_id 0
		.amdhsa_user_sgpr_private_segment_size 0
		.amdhsa_wavefront_size32 1
		.amdhsa_uses_dynamic_stack 0
		.amdhsa_enable_private_segment 0
		.amdhsa_system_sgpr_workgroup_id_x 1
		.amdhsa_system_sgpr_workgroup_id_y 0
		.amdhsa_system_sgpr_workgroup_id_z 0
		.amdhsa_system_sgpr_workgroup_info 0
		.amdhsa_system_vgpr_workitem_id 0
		.amdhsa_next_free_vgpr 52
		.amdhsa_next_free_sgpr 26
		.amdhsa_reserve_vcc 1
		.amdhsa_float_round_mode_32 0
		.amdhsa_float_round_mode_16_64 0
		.amdhsa_float_denorm_mode_32 3
		.amdhsa_float_denorm_mode_16_64 3
		.amdhsa_fp16_overflow 0
		.amdhsa_workgroup_processor_mode 1
		.amdhsa_memory_ordered 1
		.amdhsa_forward_progress 0
		.amdhsa_round_robin_scheduling 0
		.amdhsa_exception_fp_ieee_invalid_op 0
		.amdhsa_exception_fp_denorm_src 0
		.amdhsa_exception_fp_ieee_div_zero 0
		.amdhsa_exception_fp_ieee_overflow 0
		.amdhsa_exception_fp_ieee_underflow 0
		.amdhsa_exception_fp_ieee_inexact 0
		.amdhsa_exception_int_div_zero 0
	.end_amdhsa_kernel
	.text
.Lfunc_end0:
	.size	fft_rtc_back_len343_factors_7_7_7_wgs_245_tpt_49_sp_op_CI_CI_sbrc_z_xy_aligned, .Lfunc_end0-fft_rtc_back_len343_factors_7_7_7_wgs_245_tpt_49_sp_op_CI_CI_sbrc_z_xy_aligned
                                        ; -- End function
	.section	.AMDGPU.csdata,"",@progbits
; Kernel info:
; codeLenInByte = 4548
; NumSgprs: 28
; NumVgprs: 52
; ScratchSize: 0
; MemoryBound: 0
; FloatMode: 240
; IeeeMode: 1
; LDSByteSize: 0 bytes/workgroup (compile time only)
; SGPRBlocks: 3
; VGPRBlocks: 6
; NumSGPRsForWavesPerEU: 28
; NumVGPRsForWavesPerEU: 52
; Occupancy: 16
; WaveLimiterHint : 1
; COMPUTE_PGM_RSRC2:SCRATCH_EN: 0
; COMPUTE_PGM_RSRC2:USER_SGPR: 2
; COMPUTE_PGM_RSRC2:TRAP_HANDLER: 0
; COMPUTE_PGM_RSRC2:TGID_X_EN: 1
; COMPUTE_PGM_RSRC2:TGID_Y_EN: 0
; COMPUTE_PGM_RSRC2:TGID_Z_EN: 0
; COMPUTE_PGM_RSRC2:TIDIG_COMP_CNT: 0
	.text
	.p2alignl 7, 3214868480
	.fill 96, 4, 3214868480
	.type	__hip_cuid_9f61091b348373fb,@object ; @__hip_cuid_9f61091b348373fb
	.section	.bss,"aw",@nobits
	.globl	__hip_cuid_9f61091b348373fb
__hip_cuid_9f61091b348373fb:
	.byte	0                               ; 0x0
	.size	__hip_cuid_9f61091b348373fb, 1

	.ident	"AMD clang version 19.0.0git (https://github.com/RadeonOpenCompute/llvm-project roc-6.4.0 25133 c7fe45cf4b819c5991fe208aaa96edf142730f1d)"
	.section	".note.GNU-stack","",@progbits
	.addrsig
	.addrsig_sym __hip_cuid_9f61091b348373fb
	.amdgpu_metadata
---
amdhsa.kernels:
  - .args:
      - .actual_access:  read_only
        .address_space:  global
        .offset:         0
        .size:           8
        .value_kind:     global_buffer
      - .offset:         8
        .size:           8
        .value_kind:     by_value
      - .actual_access:  read_only
        .address_space:  global
        .offset:         16
        .size:           8
        .value_kind:     global_buffer
      - .actual_access:  read_only
        .address_space:  global
        .offset:         24
        .size:           8
        .value_kind:     global_buffer
      - .actual_access:  read_only
        .address_space:  global
        .offset:         32
        .size:           8
        .value_kind:     global_buffer
      - .offset:         40
        .size:           8
        .value_kind:     by_value
      - .actual_access:  read_only
        .address_space:  global
        .offset:         48
        .size:           8
        .value_kind:     global_buffer
      - .actual_access:  read_only
        .address_space:  global
        .offset:         56
        .size:           8
        .value_kind:     global_buffer
      - .offset:         64
        .size:           4
        .value_kind:     by_value
      - .actual_access:  read_only
        .address_space:  global
        .offset:         72
        .size:           8
        .value_kind:     global_buffer
      - .actual_access:  read_only
        .address_space:  global
        .offset:         80
        .size:           8
        .value_kind:     global_buffer
      - .actual_access:  read_only
        .address_space:  global
        .offset:         88
        .size:           8
        .value_kind:     global_buffer
      - .actual_access:  write_only
        .address_space:  global
        .offset:         96
        .size:           8
        .value_kind:     global_buffer
    .group_segment_fixed_size: 0
    .kernarg_segment_align: 8
    .kernarg_segment_size: 104
    .language:       OpenCL C
    .language_version:
      - 2
      - 0
    .max_flat_workgroup_size: 245
    .name:           fft_rtc_back_len343_factors_7_7_7_wgs_245_tpt_49_sp_op_CI_CI_sbrc_z_xy_aligned
    .private_segment_fixed_size: 0
    .sgpr_count:     28
    .sgpr_spill_count: 0
    .symbol:         fft_rtc_back_len343_factors_7_7_7_wgs_245_tpt_49_sp_op_CI_CI_sbrc_z_xy_aligned.kd
    .uniform_work_group_size: 1
    .uses_dynamic_stack: false
    .vgpr_count:     52
    .vgpr_spill_count: 0
    .wavefront_size: 32
    .workgroup_processor_mode: 1
amdhsa.target:   amdgcn-amd-amdhsa--gfx1201
amdhsa.version:
  - 1
  - 2
...

	.end_amdgpu_metadata
